;; amdgpu-corpus repo=ROCm/rocFFT kind=compiled arch=gfx950 opt=O3
	.text
	.amdgcn_target "amdgcn-amd-amdhsa--gfx950"
	.amdhsa_code_object_version 6
	.protected	fft_rtc_back_len440_factors_11_8_5_wgs_55_tpt_55_sp_op_CI_CI_unitstride_sbrr_C2R_dirReg ; -- Begin function fft_rtc_back_len440_factors_11_8_5_wgs_55_tpt_55_sp_op_CI_CI_unitstride_sbrr_C2R_dirReg
	.globl	fft_rtc_back_len440_factors_11_8_5_wgs_55_tpt_55_sp_op_CI_CI_unitstride_sbrr_C2R_dirReg
	.p2align	8
	.type	fft_rtc_back_len440_factors_11_8_5_wgs_55_tpt_55_sp_op_CI_CI_unitstride_sbrr_C2R_dirReg,@function
fft_rtc_back_len440_factors_11_8_5_wgs_55_tpt_55_sp_op_CI_CI_unitstride_sbrr_C2R_dirReg: ; @fft_rtc_back_len440_factors_11_8_5_wgs_55_tpt_55_sp_op_CI_CI_unitstride_sbrr_C2R_dirReg
; %bb.0:
	s_load_dwordx4 s[4:7], s[0:1], 0x58
	s_load_dwordx4 s[8:11], s[0:1], 0x0
	;; [unrolled: 1-line block ×3, first 2 shown]
	v_mul_u32_u24_e32 v1, 0x4a8, v0
	v_add_u32_sdwa v6, s2, v1 dst_sel:DWORD dst_unused:UNUSED_PAD src0_sel:DWORD src1_sel:WORD_1
	v_mov_b32_e32 v4, 0
	s_waitcnt lgkmcnt(0)
	v_cmp_lt_u64_e64 s[2:3], s[10:11], 2
	v_mov_b32_e32 v7, v4
	s_and_b64 vcc, exec, s[2:3]
	v_mov_b64_e32 v[2:3], 0
	s_cbranch_vccnz .LBB0_8
; %bb.1:
	s_load_dwordx2 s[2:3], s[0:1], 0x10
	s_add_u32 s16, s14, 8
	s_addc_u32 s17, s15, 0
	s_add_u32 s18, s12, 8
	s_addc_u32 s19, s13, 0
	s_waitcnt lgkmcnt(0)
	s_add_u32 s20, s2, 8
	v_mov_b64_e32 v[2:3], 0
	s_addc_u32 s21, s3, 0
	s_mov_b64 s[22:23], 1
	v_mov_b64_e32 v[20:21], v[2:3]
.LBB0_2:                                ; =>This Inner Loop Header: Depth=1
	s_load_dwordx2 s[24:25], s[20:21], 0x0
                                        ; implicit-def: $vgpr22_vgpr23
	s_waitcnt lgkmcnt(0)
	v_or_b32_e32 v5, s25, v7
	v_cmp_ne_u64_e32 vcc, 0, v[4:5]
	s_and_saveexec_b64 s[2:3], vcc
	s_xor_b64 s[26:27], exec, s[2:3]
	s_cbranch_execz .LBB0_4
; %bb.3:                                ;   in Loop: Header=BB0_2 Depth=1
	v_cvt_f32_u32_e32 v1, s24
	v_cvt_f32_u32_e32 v5, s25
	s_sub_u32 s2, 0, s24
	s_subb_u32 s3, 0, s25
	v_fmac_f32_e32 v1, 0x4f800000, v5
	v_rcp_f32_e32 v1, v1
	s_nop 0
	v_mul_f32_e32 v1, 0x5f7ffffc, v1
	v_mul_f32_e32 v5, 0x2f800000, v1
	v_trunc_f32_e32 v5, v5
	v_fmac_f32_e32 v1, 0xcf800000, v5
	v_cvt_u32_f32_e32 v5, v5
	v_cvt_u32_f32_e32 v1, v1
	v_mul_lo_u32 v8, s2, v5
	v_mul_hi_u32 v10, s2, v1
	v_mul_lo_u32 v9, s3, v1
	v_add_u32_e32 v10, v10, v8
	v_mul_lo_u32 v12, s2, v1
	v_add_u32_e32 v13, v10, v9
	v_mul_hi_u32 v8, v1, v12
	v_mul_hi_u32 v11, v1, v13
	v_mul_lo_u32 v10, v1, v13
	v_mov_b32_e32 v9, v4
	v_lshl_add_u64 v[8:9], v[8:9], 0, v[10:11]
	v_mul_hi_u32 v11, v5, v12
	v_mul_lo_u32 v12, v5, v12
	v_add_co_u32_e32 v8, vcc, v8, v12
	v_mul_hi_u32 v10, v5, v13
	s_nop 0
	v_addc_co_u32_e32 v8, vcc, v9, v11, vcc
	v_mov_b32_e32 v9, v4
	s_nop 0
	v_addc_co_u32_e32 v11, vcc, 0, v10, vcc
	v_mul_lo_u32 v10, v5, v13
	v_lshl_add_u64 v[8:9], v[8:9], 0, v[10:11]
	v_add_co_u32_e32 v1, vcc, v1, v8
	v_mul_lo_u32 v10, s2, v1
	s_nop 0
	v_addc_co_u32_e32 v5, vcc, v5, v9, vcc
	v_mul_lo_u32 v8, s2, v5
	v_mul_hi_u32 v9, s2, v1
	v_add_u32_e32 v8, v9, v8
	v_mul_lo_u32 v9, s3, v1
	v_add_u32_e32 v12, v8, v9
	v_mul_hi_u32 v14, v5, v10
	v_mul_lo_u32 v15, v5, v10
	v_mul_hi_u32 v9, v1, v12
	v_mul_lo_u32 v8, v1, v12
	v_mul_hi_u32 v10, v1, v10
	v_mov_b32_e32 v11, v4
	v_lshl_add_u64 v[8:9], v[10:11], 0, v[8:9]
	v_add_co_u32_e32 v8, vcc, v8, v15
	v_mul_hi_u32 v13, v5, v12
	s_nop 0
	v_addc_co_u32_e32 v8, vcc, v9, v14, vcc
	v_mul_lo_u32 v10, v5, v12
	s_nop 0
	v_addc_co_u32_e32 v11, vcc, 0, v13, vcc
	v_mov_b32_e32 v9, v4
	v_lshl_add_u64 v[8:9], v[8:9], 0, v[10:11]
	v_add_co_u32_e32 v1, vcc, v1, v8
	v_mul_hi_u32 v10, v6, v1
	s_nop 0
	v_addc_co_u32_e32 v5, vcc, v5, v9, vcc
	v_mad_u64_u32 v[8:9], s[2:3], v6, v5, 0
	v_mov_b32_e32 v11, v4
	v_lshl_add_u64 v[8:9], v[10:11], 0, v[8:9]
	v_mad_u64_u32 v[12:13], s[2:3], v7, v1, 0
	v_add_co_u32_e32 v1, vcc, v8, v12
	v_mad_u64_u32 v[10:11], s[2:3], v7, v5, 0
	s_nop 0
	v_addc_co_u32_e32 v8, vcc, v9, v13, vcc
	v_mov_b32_e32 v9, v4
	s_nop 0
	v_addc_co_u32_e32 v11, vcc, 0, v11, vcc
	v_lshl_add_u64 v[8:9], v[8:9], 0, v[10:11]
	v_mul_lo_u32 v1, s25, v8
	v_mul_lo_u32 v5, s24, v9
	v_mad_u64_u32 v[10:11], s[2:3], s24, v8, 0
	v_add3_u32 v1, v11, v5, v1
	v_sub_u32_e32 v5, v7, v1
	v_mov_b32_e32 v11, s25
	v_sub_co_u32_e32 v14, vcc, v6, v10
	v_lshl_add_u64 v[12:13], v[8:9], 0, 1
	s_nop 0
	v_subb_co_u32_e64 v5, s[2:3], v5, v11, vcc
	v_subrev_co_u32_e64 v10, s[2:3], s24, v14
	v_subb_co_u32_e32 v1, vcc, v7, v1, vcc
	s_nop 0
	v_subbrev_co_u32_e64 v5, s[2:3], 0, v5, s[2:3]
	v_cmp_le_u32_e64 s[2:3], s25, v5
	v_cmp_le_u32_e32 vcc, s25, v1
	s_nop 0
	v_cndmask_b32_e64 v11, 0, -1, s[2:3]
	v_cmp_le_u32_e64 s[2:3], s24, v10
	s_nop 1
	v_cndmask_b32_e64 v10, 0, -1, s[2:3]
	v_cmp_eq_u32_e64 s[2:3], s25, v5
	s_nop 1
	v_cndmask_b32_e64 v5, v11, v10, s[2:3]
	v_lshl_add_u64 v[10:11], v[8:9], 0, 2
	v_cmp_ne_u32_e64 s[2:3], 0, v5
	s_nop 1
	v_cndmask_b32_e64 v5, v13, v11, s[2:3]
	v_cndmask_b32_e64 v11, 0, -1, vcc
	v_cmp_le_u32_e32 vcc, s24, v14
	s_nop 1
	v_cndmask_b32_e64 v13, 0, -1, vcc
	v_cmp_eq_u32_e32 vcc, s25, v1
	s_nop 1
	v_cndmask_b32_e32 v1, v11, v13, vcc
	v_cmp_ne_u32_e32 vcc, 0, v1
	v_cndmask_b32_e64 v1, v12, v10, s[2:3]
	s_nop 0
	v_cndmask_b32_e32 v23, v9, v5, vcc
	v_cndmask_b32_e32 v22, v8, v1, vcc
.LBB0_4:                                ;   in Loop: Header=BB0_2 Depth=1
	s_andn2_saveexec_b64 s[2:3], s[26:27]
	s_cbranch_execz .LBB0_6
; %bb.5:                                ;   in Loop: Header=BB0_2 Depth=1
	v_cvt_f32_u32_e32 v1, s24
	s_sub_i32 s26, 0, s24
	v_mov_b32_e32 v23, v4
	v_rcp_iflag_f32_e32 v1, v1
	s_nop 0
	v_mul_f32_e32 v1, 0x4f7ffffe, v1
	v_cvt_u32_f32_e32 v1, v1
	v_mul_lo_u32 v5, s26, v1
	v_mul_hi_u32 v5, v1, v5
	v_add_u32_e32 v1, v1, v5
	v_mul_hi_u32 v1, v6, v1
	v_mul_lo_u32 v5, v1, s24
	v_sub_u32_e32 v5, v6, v5
	v_add_u32_e32 v8, 1, v1
	v_subrev_u32_e32 v9, s24, v5
	v_cmp_le_u32_e32 vcc, s24, v5
	s_nop 1
	v_cndmask_b32_e32 v5, v5, v9, vcc
	v_cndmask_b32_e32 v1, v1, v8, vcc
	v_add_u32_e32 v8, 1, v1
	v_cmp_le_u32_e32 vcc, s24, v5
	s_nop 1
	v_cndmask_b32_e32 v22, v1, v8, vcc
.LBB0_6:                                ;   in Loop: Header=BB0_2 Depth=1
	s_or_b64 exec, exec, s[2:3]
	v_mad_u64_u32 v[8:9], s[2:3], v22, s24, 0
	s_load_dwordx2 s[2:3], s[18:19], 0x0
	v_mul_lo_u32 v1, v23, s24
	v_mul_lo_u32 v5, v22, s25
	s_load_dwordx2 s[24:25], s[16:17], 0x0
	s_add_u32 s22, s22, 1
	v_add3_u32 v1, v9, v5, v1
	v_sub_co_u32_e32 v5, vcc, v6, v8
	s_addc_u32 s23, s23, 0
	s_nop 0
	v_subb_co_u32_e32 v1, vcc, v7, v1, vcc
	s_add_u32 s16, s16, 8
	s_waitcnt lgkmcnt(0)
	v_mul_lo_u32 v6, s2, v1
	v_mul_lo_u32 v7, s3, v5
	v_mad_u64_u32 v[2:3], s[2:3], s2, v5, v[2:3]
	s_addc_u32 s17, s17, 0
	v_add3_u32 v3, v7, v3, v6
	v_mul_lo_u32 v1, s24, v1
	v_mul_lo_u32 v6, s25, v5
	v_mad_u64_u32 v[20:21], s[2:3], s24, v5, v[20:21]
	s_add_u32 s18, s18, 8
	v_add3_u32 v21, v6, v21, v1
	s_addc_u32 s19, s19, 0
	v_mov_b64_e32 v[6:7], s[10:11]
	s_add_u32 s20, s20, 8
	v_cmp_ge_u64_e32 vcc, s[22:23], v[6:7]
	s_addc_u32 s21, s21, 0
	s_cbranch_vccnz .LBB0_9
; %bb.7:                                ;   in Loop: Header=BB0_2 Depth=1
	v_mov_b64_e32 v[6:7], v[22:23]
	s_branch .LBB0_2
.LBB0_8:
	v_mov_b64_e32 v[20:21], v[2:3]
	v_mov_b64_e32 v[22:23], v[6:7]
.LBB0_9:
	s_load_dwordx2 s[0:1], s[0:1], 0x28
	s_lshl_b64 s[16:17], s[10:11], 3
	s_add_u32 s2, s14, s16
	s_addc_u32 s3, s15, s17
                                        ; implicit-def: $vgpr24
	s_waitcnt lgkmcnt(0)
	v_cmp_gt_u64_e32 vcc, s[0:1], v[22:23]
	v_cmp_le_u64_e64 s[0:1], s[0:1], v[22:23]
	s_and_saveexec_b64 s[10:11], s[0:1]
	s_xor_b64 s[0:1], exec, s[10:11]
; %bb.10:
	s_mov_b32 s10, 0x4a7904b
	v_mul_hi_u32 v1, v0, s10
	v_mul_u32_u24_e32 v1, 55, v1
	v_sub_u32_e32 v24, v0, v1
                                        ; implicit-def: $vgpr0
                                        ; implicit-def: $vgpr2_vgpr3
; %bb.11:
	s_or_saveexec_b64 s[10:11], s[0:1]
	s_load_dwordx2 s[2:3], s[2:3], 0x0
	s_xor_b64 exec, exec, s[10:11]
	s_cbranch_execz .LBB0_15
; %bb.12:
	s_add_u32 s0, s12, s16
	s_addc_u32 s1, s13, s17
	s_load_dwordx2 s[0:1], s[0:1], 0x0
	s_mov_b32 s12, 0x4a7904b
	s_waitcnt lgkmcnt(0)
	v_mul_lo_u32 v1, s1, v22
	v_mul_lo_u32 v6, s0, v23
	v_mad_u64_u32 v[4:5], s[0:1], s0, v22, 0
	v_add3_u32 v5, v5, v6, v1
	v_mul_hi_u32 v1, v0, s12
	v_mul_u32_u24_e32 v1, 55, v1
	v_sub_u32_e32 v24, v0, v1
	v_lshl_add_u64 v[0:1], v[4:5], 3, s[4:5]
	v_lshl_add_u64 v[0:1], v[2:3], 3, v[0:1]
	v_lshlrev_b32_e32 v2, 3, v24
	v_mov_b32_e32 v3, 0
	v_lshl_add_u64 v[4:5], v[0:1], 0, v[2:3]
	global_load_dwordx2 v[6:7], v[4:5], off
	global_load_dwordx2 v[8:9], v[4:5], off offset:440
	global_load_dwordx2 v[10:11], v[4:5], off offset:880
	;; [unrolled: 1-line block ×7, first 2 shown]
	v_add_u32_e32 v2, 0, v2
	v_cmp_eq_u32_e64 s[0:1], 54, v24
	v_add_u32_e32 v4, 0x400, v2
	v_add_u32_e32 v5, 0x800, v2
	s_waitcnt vmcnt(6)
	ds_write2_b64 v2, v[6:7], v[8:9] offset1:55
	s_waitcnt vmcnt(4)
	ds_write2_b64 v2, v[10:11], v[12:13] offset0:110 offset1:165
	s_waitcnt vmcnt(2)
	ds_write2_b64 v4, v[14:15], v[16:17] offset0:92 offset1:147
	;; [unrolled: 2-line block ×3, first 2 shown]
	s_and_saveexec_b64 s[4:5], s[0:1]
	s_cbranch_execz .LBB0_14
; %bb.13:
	global_load_dwordx2 v[0:1], v[0:1], off offset:3520
	v_mov_b32_e32 v24, 54
	s_waitcnt vmcnt(0)
	ds_write_b64 v3, v[0:1] offset:3520
.LBB0_14:
	s_or_b64 exec, exec, s[4:5]
.LBB0_15:
	s_or_b64 exec, exec, s[10:11]
	v_lshlrev_b32_e32 v0, 3, v24
	v_add_u32_e32 v102, 0, v0
	s_waitcnt lgkmcnt(0)
	; wave barrier
	s_waitcnt lgkmcnt(0)
	v_sub_u32_e32 v4, 0, v0
	ds_read_b32 v1, v102
	ds_read_b32 v2, v4 offset:3520
	v_cmp_ne_u32_e64 s[0:1], 0, v24
	s_waitcnt lgkmcnt(0)
	v_add_f32_e32 v0, v2, v1
	v_sub_f32_e32 v1, v1, v2
                                        ; implicit-def: $vgpr2_vgpr3
	s_and_saveexec_b64 s[4:5], s[0:1]
	s_xor_b64 s[0:1], exec, s[4:5]
	s_cbranch_execz .LBB0_17
; %bb.16:
	v_mov_b32_e32 v25, 0
	v_lshl_add_u64 v[2:3], v[24:25], 3, s[8:9]
	global_load_dwordx2 v[6:7], v[2:3], off offset:3432
	ds_read_b32 v5, v4 offset:3524
	ds_read_b32 v11, v102 offset:4
	v_mov_b32_e32 v8, v1
	v_mov_b32_e32 v10, v0
	v_mov_b32_e32 v13, v1
	v_mov_b64_e32 v[2:3], v[24:25]
	s_waitcnt lgkmcnt(0)
	v_add_f32_e32 v9, v5, v11
	v_sub_f32_e32 v11, v11, v5
	v_mov_b32_e32 v12, v9
	s_waitcnt vmcnt(0)
	v_pk_mul_f32 v[14:15], v[8:9], v[6:7] op_sel:[0,1]
	v_pk_fma_f32 v[8:9], v[8:9], v[6:7], v[10:11] op_sel:[0,1,0]
	v_mov_b32_e32 v1, v15
	v_mov_b32_e32 v15, v11
	v_pk_fma_f32 v[16:17], v[6:7], v[12:13], v[8:9] neg_lo:[1,0,0] neg_hi:[1,0,0]
	v_pk_fma_f32 v[8:9], v[6:7], v[12:13], v[8:9] op_sel_hi:[0,1,1]
	v_pk_add_f32 v[0:1], v[0:1], v[14:15] neg_lo:[0,1] neg_hi:[0,1]
	v_mov_b32_e32 v17, v9
	v_pk_fma_f32 v[0:1], v[6:7], v[12:13], v[0:1] op_sel_hi:[0,1,1]
	ds_write_b64 v4, v[0:1] offset:3520
	v_mov_b64_e32 v[0:1], v[16:17]
.LBB0_17:
	s_andn2_saveexec_b64 s[0:1], s[0:1]
	s_cbranch_execz .LBB0_19
; %bb.18:
	v_mov_b32_e32 v5, 0
	ds_read_b64 v[2:3], v5 offset:1760
	s_mov_b32 s4, 2.0
	s_mov_b32 s5, -2.0
	s_waitcnt lgkmcnt(0)
	v_pk_mul_f32 v[2:3], v[2:3], s[4:5]
	ds_write_b64 v5, v[2:3] offset:1760
	v_mov_b64_e32 v[2:3], 0
.LBB0_19:
	s_or_b64 exec, exec, s[0:1]
	s_add_u32 s0, s8, 0xd68
	s_addc_u32 s1, s9, 0
	v_lshl_add_u64 v[2:3], v[2:3], 3, s[0:1]
	global_load_dwordx2 v[6:7], v[2:3], off offset:440
	global_load_dwordx2 v[8:9], v[2:3], off offset:880
	;; [unrolled: 1-line block ×3, first 2 shown]
	ds_write_b64 v102, v[0:1]
	ds_read_b64 v[0:1], v102 offset:440
	ds_read_b64 v[2:3], v4 offset:3080
	v_add_u32_e32 v25, 0x400, v102
	v_add_u32_e32 v103, 0x800, v102
	s_mov_b32 s4, 0x3ed4b147
	s_mov_b32 s5, 0xbf68dda4
	s_waitcnt lgkmcnt(0)
	v_pk_add_f32 v[12:13], v[0:1], v[2:3]
	v_pk_add_f32 v[0:1], v[0:1], v[2:3] neg_lo:[0,1] neg_hi:[0,1]
	v_mov_b32_e32 v2, v13
	v_mov_b32_e32 v3, v0
	;; [unrolled: 1-line block ×3, first 2 shown]
	s_mov_b32 s10, 0xbf27a4f4
	s_mov_b32 s11, 0xbf4178ce
	;; [unrolled: 1-line block ×15, first 2 shown]
	s_waitcnt vmcnt(2)
	v_pk_mul_f32 v[14:15], v[2:3], v[6:7] op_sel:[0,1]
	s_nop 0
	v_pk_add_f32 v[16:17], v[12:13], v[14:15] op_sel:[0,1] op_sel_hi:[1,0]
	v_mov_b32_e32 v13, v14
	v_mov_b32_e32 v0, v15
	v_pk_fma_f32 v[14:15], v[6:7], v[2:3], v[16:17] neg_lo:[1,0,0] neg_hi:[1,0,0]
	v_pk_fma_f32 v[16:17], v[6:7], v[2:3], v[16:17] op_sel_hi:[0,1,1]
	v_pk_add_f32 v[0:1], v[12:13], v[0:1] neg_lo:[0,1] neg_hi:[0,1]
	v_mov_b32_e32 v15, v17
	v_pk_fma_f32 v[0:1], v[6:7], v[2:3], v[0:1] op_sel_hi:[0,1,1]
	ds_write_b64 v102, v[14:15] offset:440
	ds_write_b64 v4, v[0:1] offset:3080
	ds_read_b64 v[0:1], v4 offset:2640
	ds_read_b64 v[2:3], v102 offset:880
	s_waitcnt lgkmcnt(0)
	v_pk_add_f32 v[6:7], v[2:3], v[0:1]
	v_pk_add_f32 v[0:1], v[2:3], v[0:1] neg_lo:[0,1] neg_hi:[0,1]
	v_mov_b32_e32 v2, v7
	v_mov_b32_e32 v3, v0
	;; [unrolled: 1-line block ×3, first 2 shown]
	s_waitcnt vmcnt(1)
	v_pk_mul_f32 v[12:13], v[2:3], v[8:9] op_sel:[0,1]
	s_nop 0
	v_pk_add_f32 v[14:15], v[6:7], v[12:13] op_sel:[0,1] op_sel_hi:[1,0]
	v_mov_b32_e32 v7, v12
	v_mov_b32_e32 v0, v13
	v_pk_fma_f32 v[12:13], v[8:9], v[2:3], v[14:15] neg_lo:[1,0,0] neg_hi:[1,0,0]
	v_pk_fma_f32 v[14:15], v[8:9], v[2:3], v[14:15] op_sel_hi:[0,1,1]
	v_pk_add_f32 v[0:1], v[6:7], v[0:1] neg_lo:[0,1] neg_hi:[0,1]
	v_mov_b32_e32 v13, v15
	v_pk_fma_f32 v[0:1], v[8:9], v[2:3], v[0:1] op_sel_hi:[0,1,1]
	ds_write_b64 v102, v[12:13] offset:880
	ds_write_b64 v4, v[0:1] offset:2640
	ds_read_b64 v[0:1], v4 offset:2200
	ds_read_b64 v[2:3], v102 offset:1320
	s_waitcnt lgkmcnt(0)
	v_pk_add_f32 v[6:7], v[2:3], v[0:1]
	v_pk_add_f32 v[0:1], v[2:3], v[0:1] neg_lo:[0,1] neg_hi:[0,1]
	v_mov_b32_e32 v2, v7
	v_mov_b32_e32 v3, v0
	;; [unrolled: 1-line block ×3, first 2 shown]
	s_waitcnt vmcnt(0)
	v_pk_mul_f32 v[8:9], v[2:3], v[10:11] op_sel:[0,1]
	s_nop 0
	v_pk_add_f32 v[12:13], v[6:7], v[8:9] op_sel:[0,1] op_sel_hi:[1,0]
	v_mov_b32_e32 v7, v8
	v_mov_b32_e32 v0, v9
	v_pk_fma_f32 v[8:9], v[10:11], v[2:3], v[12:13] neg_lo:[1,0,0] neg_hi:[1,0,0]
	v_pk_fma_f32 v[12:13], v[10:11], v[2:3], v[12:13] op_sel_hi:[0,1,1]
	v_pk_add_f32 v[0:1], v[6:7], v[0:1] neg_lo:[0,1] neg_hi:[0,1]
	v_mov_b32_e32 v9, v13
	v_pk_fma_f32 v[0:1], v[10:11], v[2:3], v[0:1] op_sel_hi:[0,1,1]
	ds_write_b64 v102, v[8:9] offset:1320
	ds_write_b64 v4, v[0:1] offset:2200
	s_waitcnt lgkmcnt(0)
	; wave barrier
	s_waitcnt lgkmcnt(0)
	s_waitcnt lgkmcnt(0)
	; wave barrier
	s_waitcnt lgkmcnt(0)
	ds_read2_b64 v[0:3], v102 offset1:40
	ds_read_b64 v[50:51], v102 offset:3200
	ds_read2_b64 v[8:11], v102 offset0:80 offset1:120
	ds_read2_b64 v[4:7], v103 offset0:64 offset1:104
	;; [unrolled: 1-line block ×4, first 2 shown]
	s_waitcnt lgkmcnt(4)
	v_pk_add_f32 v[36:37], v[50:51], v[2:3]
	v_pk_add_f32 v[38:39], v[2:3], v[50:51] neg_lo:[0,1] neg_hi:[0,1]
	s_waitcnt lgkmcnt(2)
	v_pk_add_f32 v[34:35], v[6:7], v[8:9]
	v_pk_add_f32 v[40:41], v[8:9], v[6:7] neg_lo:[0,1] neg_hi:[0,1]
	v_mov_b32_e32 v28, v39
	v_mov_b32_e32 v29, v37
	v_pk_add_f32 v[32:33], v[4:5], v[10:11]
	v_pk_add_f32 v[42:43], v[10:11], v[4:5] neg_lo:[0,1] neg_hi:[0,1]
	v_mov_b32_e32 v80, v36
	v_mov_b32_e32 v81, v38
	;; [unrolled: 1-line block ×4, first 2 shown]
	v_pk_mul_f32 v[60:61], v[28:29], s[18:19]
	s_waitcnt lgkmcnt(0)
	v_pk_add_f32 v[30:31], v[14:15], v[16:17]
	v_pk_add_f32 v[44:45], v[16:17], v[14:15] neg_lo:[0,1] neg_hi:[0,1]
	v_mov_b32_e32 v82, v34
	v_mov_b32_e32 v83, v40
	;; [unrolled: 1-line block ×4, first 2 shown]
	v_pk_mul_f32 v[56:57], v[76:77], s[16:17]
	v_pk_fma_f32 v[62:63], v[80:81], s[4:5], v[60:61]
	v_pk_fma_f32 v[26:27], v[80:81], s[4:5], v[60:61] neg_lo:[0,0,1] neg_hi:[0,0,1]
	v_mov_b32_e32 v88, v32
	v_mov_b32_e32 v89, v42
	;; [unrolled: 1-line block ×4, first 2 shown]
	v_pk_mul_f32 v[52:53], v[84:85], s[0:1]
	v_pk_fma_f32 v[58:59], v[82:83], s[10:11], v[56:57]
	v_pk_fma_f32 v[46:47], v[82:83], s[10:11], v[56:57] neg_lo:[0,0,1] neg_hi:[0,0,1]
	v_mov_b32_e32 v27, v63
	s_mov_b32 s18, s15
	s_mov_b32 s19, s14
	v_pk_fma_f32 v[54:55], v[88:89], s[12:13], v[52:53]
	v_pk_fma_f32 v[48:49], v[88:89], s[12:13], v[52:53] neg_lo:[0,0,1] neg_hi:[0,0,1]
	v_mov_b32_e32 v47, v59
	v_pk_add_f32 v[26:27], v[0:1], v[26:27]
	v_mov_b32_e32 v98, v30
	v_mov_b32_e32 v99, v44
	v_pk_mul_f32 v[64:65], v[90:91], s[18:19]
	v_mov_b32_e32 v49, v55
	v_pk_add_f32 v[26:27], v[46:47], v[26:27]
	v_pk_fma_f32 v[66:67], v[98:99], s[14:15], v[64:65]
	v_pk_fma_f32 v[46:47], v[98:99], s[14:15], v[64:65] neg_lo:[0,0,1] neg_hi:[0,0,1]
	v_pk_add_f32 v[26:27], v[48:49], v[26:27]
	v_mov_b32_e32 v47, v67
	s_mov_b32 s18, 0x3f575c64
	v_pk_add_f32 v[26:27], v[46:47], v[26:27]
	v_pk_add_f32 v[46:47], v[12:13], v[18:19]
	v_pk_add_f32 v[48:49], v[18:19], v[12:13] neg_lo:[0,1] neg_hi:[0,1]
	s_mov_b32 s19, 0x3f0a6770
	v_mov_b32_e32 v94, v49
	v_mov_b32_e32 v95, v47
	s_mov_b32 s20, s19
	s_mov_b32 s21, s18
	v_mov_b32_e32 v100, v46
	v_mov_b32_e32 v101, v48
	v_pk_mul_f32 v[68:69], v[94:95], s[20:21]
	s_mov_b32 s20, s23
	v_pk_fma_f32 v[70:71], v[100:101], s[18:19], v[68:69]
	v_pk_fma_f32 v[72:73], v[100:101], s[18:19], v[68:69] neg_lo:[0,0,1] neg_hi:[0,0,1]
	s_mov_b32 s21, s14
	v_mov_b32_e32 v73, v71
	v_pk_add_f32 v[26:27], v[72:73], v[26:27]
	v_pk_mul_f32 v[72:73], v[28:29], s[20:21]
	v_pk_mul_f32 v[78:79], v[76:77], s[0:1]
	v_pk_fma_f32 v[28:29], v[80:81], s[22:23], v[72:73] neg_lo:[0,0,1] neg_hi:[0,0,1]
	v_pk_fma_f32 v[74:75], v[80:81], s[22:23], v[72:73]
	s_mov_b32 s21, 0x3f68dda4
	v_mov_b32_e32 v29, v75
	v_pk_fma_f32 v[86:87], v[82:83], s[12:13], v[78:79] neg_lo:[0,0,1] neg_hi:[0,0,1]
	v_pk_fma_f32 v[76:77], v[82:83], s[12:13], v[78:79]
	s_mov_b32 s0, s21
	s_mov_b32 s1, s4
	v_mov_b32_e32 v87, v77
	v_pk_add_f32 v[28:29], v[0:1], v[28:29]
	v_pk_mul_f32 v[84:85], v[84:85], s[0:1]
	s_mov_b32 s20, s4
	v_pk_add_f32 v[28:29], v[86:87], v[28:29]
	v_pk_fma_f32 v[92:93], v[88:89], s[20:21], v[84:85] neg_lo:[0,0,1] neg_hi:[0,0,1]
	v_pk_fma_f32 v[86:87], v[88:89], s[20:21], v[84:85]
	s_mov_b32 s0, s25
	s_mov_b32 s1, s18
	v_mov_b32_e32 v93, v87
	v_pk_mul_f32 v[90:91], v[90:91], s[0:1]
	s_mov_b32 s24, s18
	v_pk_add_f32 v[28:29], v[92:93], v[28:29]
	v_pk_fma_f32 v[96:97], v[98:99], s[24:25], v[90:91] neg_lo:[0,0,1] neg_hi:[0,0,1]
	v_pk_fma_f32 v[92:93], v[98:99], s[24:25], v[90:91]
	v_cmp_gt_u32_e64 s[0:1], 40, v24
	v_mov_b32_e32 v97, v93
	v_pk_add_f32 v[28:29], v[96:97], v[28:29]
	v_pk_mul_f32 v[96:97], v[94:95], s[16:17]
	s_nop 0
	v_pk_fma_f32 v[104:105], v[100:101], s[10:11], v[96:97] neg_lo:[0,0,1] neg_hi:[0,0,1]
	v_pk_fma_f32 v[94:95], v[100:101], s[10:11], v[96:97]
	; wave barrier
	s_nop 0
	v_mov_b32_e32 v105, v95
	v_pk_add_f32 v[28:29], v[104:105], v[28:29]
	s_and_saveexec_b64 s[16:17], s[0:1]
	s_cbranch_execz .LBB0_21
; %bb.20:
	v_pk_add_f32 v[2:3], v[0:1], v[2:3]
	v_pk_mul_f32 v[110:111], v[98:99], s[14:15]
	v_pk_add_f32 v[2:3], v[2:3], v[8:9]
	v_pk_mul_f32 v[98:99], v[98:99], s[24:25]
	v_pk_add_f32 v[2:3], v[2:3], v[10:11]
	s_mov_b32 s24, s25
	v_pk_add_f32 v[2:3], v[2:3], v[16:17]
	v_pk_mul_f32 v[114:115], v[38:39], s[24:25] op_sel_hi:[1,0]
	v_pk_add_f32 v[2:3], v[2:3], v[18:19]
	s_mov_b32 s0, s5
	v_pk_add_f32 v[2:3], v[2:3], v[12:13]
	v_pk_mul_f32 v[116:117], v[40:41], s[0:1] op_sel_hi:[1,0]
	v_pk_add_f32 v[2:3], v[2:3], v[14:15]
	s_mov_b32 s0, s23
	v_pk_add_f32 v[2:3], v[2:3], v[4:5]
	v_pk_fma_f32 v[4:5], v[36:37], s[18:19], v[114:115] op_sel:[0,0,1] op_sel_hi:[1,0,0]
	v_pk_add_f32 v[2:3], v[2:3], v[6:7]
	v_pk_fma_f32 v[6:7], v[36:37], s[18:19], v[114:115] op_sel:[0,0,1] op_sel_hi:[1,0,0] neg_lo:[0,0,1] neg_hi:[0,0,1]
	v_mov_b32_e32 v8, v4
	v_mov_b32_e32 v9, v7
	v_pk_fma_f32 v[10:11], v[34:35], s[4:5], v[116:117] op_sel:[0,0,1] op_sel_hi:[1,0,0]
	v_pk_fma_f32 v[12:13], v[34:35], s[4:5], v[116:117] op_sel:[0,0,1] op_sel_hi:[1,0,0] neg_lo:[0,0,1] neg_hi:[0,0,1]
	v_pk_mul_f32 v[118:119], v[42:43], s[0:1] op_sel_hi:[1,0]
	v_pk_add_f32 v[8:9], v[0:1], v[8:9]
	v_mov_b32_e32 v14, v10
	v_mov_b32_e32 v15, v13
	v_pk_mul_f32 v[108:109], v[88:89], s[12:13]
	v_pk_mul_f32 v[88:89], v[88:89], s[20:21]
	s_mov_b32 s20, s11
	v_pk_add_f32 v[8:9], v[14:15], v[8:9]
	v_pk_fma_f32 v[14:15], v[32:33], s[14:15], v[118:119] op_sel:[0,0,1] op_sel_hi:[1,0,0]
	v_pk_fma_f32 v[16:17], v[32:33], s[14:15], v[118:119] op_sel:[0,0,1] op_sel_hi:[1,0,0] neg_lo:[0,0,1] neg_hi:[0,0,1]
	v_pk_mul_f32 v[120:121], v[44:45], s[20:21] op_sel_hi:[1,0]
	v_mov_b32_e32 v18, v14
	v_mov_b32_e32 v19, v17
	v_pk_mul_f32 v[104:105], v[80:81], s[4:5]
	v_pk_mul_f32 v[80:81], v[80:81], s[22:23]
	s_mov_b32 s22, 0xbe903f40
	v_pk_add_f32 v[2:3], v[2:3], v[50:51]
	v_pk_add_f32 v[8:9], v[18:19], v[8:9]
	v_pk_fma_f32 v[18:19], v[30:31], s[10:11], v[120:121] op_sel:[0,0,1] op_sel_hi:[1,0,0]
	v_pk_fma_f32 v[50:51], v[30:31], s[10:11], v[120:121] op_sel:[0,0,1] op_sel_hi:[1,0,0] neg_lo:[0,0,1] neg_hi:[0,0,1]
	v_pk_mul_f32 v[122:123], v[48:49], s[22:23] op_sel_hi:[1,0]
	v_mov_b32_e32 v114, v18
	v_mov_b32_e32 v115, v51
	v_pk_add_f32 v[8:9], v[114:115], v[8:9]
	v_pk_fma_f32 v[114:115], v[46:47], s[12:13], v[122:123] op_sel:[0,0,1] op_sel_hi:[1,0,0]
	v_pk_fma_f32 v[116:117], v[46:47], s[12:13], v[122:123] op_sel:[0,0,1] op_sel_hi:[1,0,0] neg_lo:[0,0,1] neg_hi:[0,0,1]
	s_movk_i32 s1, 0x50
	v_mov_b32_e32 v118, v114
	v_mov_b32_e32 v119, v117
	v_pk_mul_f32 v[106:107], v[82:83], s[10:11]
	v_mad_u32_u24 v124, v24, s1, v102
	v_pk_add_f32 v[8:9], v[118:119], v[8:9]
	ds_write2_b64 v124, v[2:3], v[8:9] offset1:1
	v_pk_add_f32 v[8:9], v[56:57], v[106:107] neg_lo:[0,1] neg_hi:[0,1]
	v_pk_mul_f32 v[112:113], v[100:101], s[18:19]
	v_mov_b32_e32 v59, v9
	v_pk_add_f32 v[8:9], v[52:53], v[108:109] neg_lo:[0,1] neg_hi:[0,1]
	v_pk_mul_f32 v[82:83], v[82:83], s[12:13]
	v_mov_b32_e32 v55, v9
	v_pk_add_f32 v[8:9], v[64:65], v[110:111] neg_lo:[0,1] neg_hi:[0,1]
	v_pk_add_f32 v[2:3], v[60:61], v[104:105] neg_lo:[0,1] neg_hi:[0,1]
	v_mov_b32_e32 v67, v9
	v_pk_add_f32 v[8:9], v[68:69], v[112:113] neg_lo:[0,1] neg_hi:[0,1]
	v_mov_b32_e32 v63, v3
	v_mov_b32_e32 v71, v9
	v_pk_add_f32 v[8:9], v[72:73], v[80:81] neg_lo:[0,1] neg_hi:[0,1]
	v_pk_add_f32 v[52:53], v[78:79], v[82:83] neg_lo:[0,1] neg_hi:[0,1]
	v_mov_b32_e32 v75, v9
	v_pk_add_f32 v[2:3], v[0:1], v[62:63]
	v_pk_add_f32 v[8:9], v[0:1], v[74:75]
	v_mov_b32_e32 v77, v53
	v_pk_add_f32 v[52:53], v[84:85], v[88:89] neg_lo:[0,1] neg_hi:[0,1]
	v_pk_mul_f32 v[100:101], v[100:101], s[10:11]
	v_pk_add_f32 v[2:3], v[58:59], v[2:3]
	v_pk_add_f32 v[8:9], v[76:77], v[8:9]
	v_mov_b32_e32 v87, v53
	v_pk_add_f32 v[52:53], v[90:91], v[98:99] neg_lo:[0,1] neg_hi:[0,1]
	v_pk_add_f32 v[2:3], v[54:55], v[2:3]
	v_pk_add_f32 v[8:9], v[86:87], v[8:9]
	v_mov_b32_e32 v93, v53
	v_pk_add_f32 v[52:53], v[96:97], v[100:101] neg_lo:[0,1] neg_hi:[0,1]
	v_pk_add_f32 v[2:3], v[66:67], v[2:3]
	v_pk_add_f32 v[8:9], v[92:93], v[8:9]
	v_mov_b32_e32 v95, v53
	v_pk_add_f32 v[2:3], v[70:71], v[2:3]
	v_pk_add_f32 v[8:9], v[94:95], v[8:9]
	ds_write2_b64 v124, v[2:3], v[8:9] offset0:2 offset1:3
	v_pk_mul_f32 v[2:3], v[38:39], s[20:21] op_sel_hi:[1,0]
	s_mov_b32 s26, s15
	v_pk_fma_f32 v[8:9], v[36:37], s[10:11], v[2:3] op_sel:[0,0,1] op_sel_hi:[1,0,0]
	v_pk_fma_f32 v[2:3], v[36:37], s[10:11], v[2:3] op_sel:[0,0,1] op_sel_hi:[1,0,0] neg_lo:[0,0,1] neg_hi:[0,0,1]
	v_pk_mul_f32 v[54:55], v[40:41], s[26:27] op_sel_hi:[1,0]
	v_mov_b32_e32 v52, v8
	v_mov_b32_e32 v53, v3
	v_pk_fma_f32 v[56:57], v[34:35], s[14:15], v[54:55] op_sel:[0,0,1] op_sel_hi:[1,0,0]
	v_pk_fma_f32 v[54:55], v[34:35], s[14:15], v[54:55] op_sel:[0,0,1] op_sel_hi:[1,0,0] neg_lo:[0,0,1] neg_hi:[0,0,1]
	v_pk_add_f32 v[52:53], v[0:1], v[52:53]
	v_mov_b32_e32 v58, v56
	v_mov_b32_e32 v59, v55
	v_pk_add_f32 v[52:53], v[58:59], v[52:53]
	v_pk_mul_f32 v[58:59], v[42:43], s[24:25] op_sel_hi:[1,0]
	s_mov_b32 s24, s21
	v_pk_fma_f32 v[60:61], v[32:33], s[18:19], v[58:59] op_sel:[0,0,1] op_sel_hi:[1,0,0]
	v_pk_fma_f32 v[58:59], v[32:33], s[18:19], v[58:59] op_sel:[0,0,1] op_sel_hi:[1,0,0] neg_lo:[0,0,1] neg_hi:[0,0,1]
	v_mov_b32_e32 v62, v60
	v_mov_b32_e32 v63, v59
	v_pk_add_f32 v[52:53], v[62:63], v[52:53]
	v_pk_mul_f32 v[62:63], v[44:45], s[22:23] op_sel_hi:[1,0]
	v_pk_mul_f32 v[38:39], v[38:39], s[22:23] op_sel_hi:[1,0]
	v_pk_fma_f32 v[64:65], v[30:31], s[12:13], v[62:63] op_sel:[0,0,1] op_sel_hi:[1,0,0]
	v_pk_fma_f32 v[62:63], v[30:31], s[12:13], v[62:63] op_sel:[0,0,1] op_sel_hi:[1,0,0] neg_lo:[0,0,1] neg_hi:[0,0,1]
	v_mov_b32_e32 v66, v64
	v_mov_b32_e32 v67, v63
	v_pk_add_f32 v[52:53], v[66:67], v[52:53]
	v_pk_mul_f32 v[66:67], v[48:49], s[24:25] op_sel_hi:[1,0]
	s_mov_b32 s22, s19
	v_pk_fma_f32 v[68:69], v[46:47], s[4:5], v[66:67] op_sel:[0,0,1] op_sel_hi:[1,0,0]
	v_pk_fma_f32 v[66:67], v[46:47], s[4:5], v[66:67] op_sel:[0,0,1] op_sel_hi:[1,0,0] neg_lo:[0,0,1] neg_hi:[0,0,1]
	v_mov_b32_e32 v70, v68
	v_mov_b32_e32 v71, v67
	v_pk_add_f32 v[52:53], v[70:71], v[52:53]
	v_pk_mul_f32 v[40:41], v[40:41], s[22:23] op_sel_hi:[1,0]
	v_pk_fma_f32 v[70:71], v[36:37], s[12:13], v[38:39] op_sel:[0,0,1] op_sel_hi:[1,0,0]
	v_pk_fma_f32 v[36:37], v[36:37], s[12:13], v[38:39] op_sel:[0,0,1] op_sel_hi:[1,0,0] neg_lo:[0,0,1] neg_hi:[0,0,1]
	v_mov_b32_e32 v38, v70
	v_mov_b32_e32 v39, v37
	v_pk_fma_f32 v[72:73], v[34:35], s[18:19], v[40:41] op_sel:[0,0,1] op_sel_hi:[1,0,0]
	v_pk_fma_f32 v[34:35], v[34:35], s[18:19], v[40:41] op_sel:[0,0,1] op_sel_hi:[1,0,0] neg_lo:[0,0,1] neg_hi:[0,0,1]
	v_pk_mul_f32 v[42:43], v[42:43], s[20:21] op_sel_hi:[1,0]
	v_pk_add_f32 v[38:39], v[0:1], v[38:39]
	v_mov_b32_e32 v40, v72
	v_mov_b32_e32 v41, v35
	v_pk_add_f32 v[38:39], v[40:41], v[38:39]
	v_pk_fma_f32 v[40:41], v[32:33], s[10:11], v[42:43] op_sel:[0,0,1] op_sel_hi:[1,0,0]
	v_pk_fma_f32 v[32:33], v[32:33], s[10:11], v[42:43] op_sel:[0,0,1] op_sel_hi:[1,0,0] neg_lo:[0,0,1] neg_hi:[0,0,1]
	v_pk_mul_f32 v[44:45], v[44:45], s[24:25] op_sel_hi:[1,0]
	v_mov_b32_e32 v42, v40
	v_mov_b32_e32 v43, v33
	;; [unrolled: 1-line block ×5, first 2 shown]
	v_pk_add_f32 v[38:39], v[42:43], v[38:39]
	v_pk_fma_f32 v[42:43], v[30:31], s[4:5], v[44:45] op_sel:[0,0,1] op_sel_hi:[1,0,0]
	v_pk_fma_f32 v[30:31], v[30:31], s[4:5], v[44:45] op_sel:[0,0,1] op_sel_hi:[1,0,0] neg_lo:[0,0,1] neg_hi:[0,0,1]
	v_pk_add_f32 v[36:37], v[0:1], v[36:37]
	v_mov_b32_e32 v35, v73
	v_pk_add_f32 v[2:3], v[0:1], v[2:3]
	v_mov_b32_e32 v55, v57
	;; [unrolled: 2-line block ×3, first 2 shown]
	v_pk_mul_f32 v[48:49], v[48:49], s[0:1] op_sel_hi:[1,0]
	v_mov_b32_e32 v44, v42
	v_mov_b32_e32 v45, v31
	v_pk_add_f32 v[34:35], v[34:35], v[36:37]
	v_mov_b32_e32 v33, v41
	v_pk_add_f32 v[2:3], v[54:55], v[2:3]
	;; [unrolled: 2-line block ×4, first 2 shown]
	v_pk_fma_f32 v[44:45], v[46:47], s[14:15], v[48:49] op_sel:[0,0,1] op_sel_hi:[1,0,0]
	v_pk_fma_f32 v[46:47], v[46:47], s[14:15], v[48:49] op_sel:[0,0,1] op_sel_hi:[1,0,0] neg_lo:[0,0,1] neg_hi:[0,0,1]
	v_pk_add_f32 v[32:33], v[32:33], v[34:35]
	v_mov_b32_e32 v31, v43
	v_pk_add_f32 v[2:3], v[58:59], v[2:3]
	v_mov_b32_e32 v63, v65
	;; [unrolled: 2-line block ×3, first 2 shown]
	v_mov_b32_e32 v48, v44
	v_mov_b32_e32 v49, v47
	v_pk_add_f32 v[30:31], v[30:31], v[32:33]
	v_mov_b32_e32 v47, v45
	v_pk_add_f32 v[2:3], v[62:63], v[2:3]
	;; [unrolled: 2-line block ×4, first 2 shown]
	v_pk_add_f32 v[30:31], v[46:47], v[30:31]
	v_pk_add_f32 v[2:3], v[66:67], v[2:3]
	v_pk_add_f32 v[0:1], v[116:117], v[0:1]
	ds_write2_b64 v124, v[52:53], v[38:39] offset0:4 offset1:5
	ds_write2_b64 v124, v[30:31], v[2:3] offset0:6 offset1:7
	ds_write2_b64 v124, v[28:29], v[26:27] offset0:8 offset1:9
	ds_write_b64 v124, v[0:1] offset:80
.LBB0_21:
	s_or_b64 exec, exec, s[16:17]
	s_movk_i32 s0, 0x75
	v_mul_lo_u16_sdwa v0, v24, s0 dst_sel:DWORD dst_unused:UNUSED_PAD src0_sel:BYTE_0 src1_sel:DWORD
	v_sub_u16_sdwa v1, v24, v0 dst_sel:DWORD dst_unused:UNUSED_PAD src0_sel:DWORD src1_sel:BYTE_1
	v_lshrrev_b16_e32 v1, 1, v1
	v_and_b32_e32 v1, 0x7f, v1
	v_add_u16_sdwa v0, v1, v0 dst_sel:DWORD dst_unused:UNUSED_PAD src0_sel:DWORD src1_sel:BYTE_1
	v_lshrrev_b16_e32 v41, 3, v0
	v_mul_lo_u16_e32 v0, 11, v41
	v_sub_u16_e32 v42, v24, v0
	v_mov_b32_e32 v0, 7
	v_mul_u32_u24_sdwa v0, v42, v0 dst_sel:DWORD dst_unused:UNUSED_PAD src0_sel:BYTE_0 src1_sel:DWORD
	v_lshlrev_b32_e32 v12, 3, v0
	s_waitcnt lgkmcnt(0)
	; wave barrier
	s_waitcnt lgkmcnt(0)
	global_load_dwordx4 v[0:3], v12, s[8:9] offset:16
	global_load_dwordx4 v[4:7], v12, s[8:9] offset:32
	global_load_dwordx2 v[38:39], v12, s[8:9] offset:48
	global_load_dwordx4 v[8:11], v12, s[8:9]
	ds_read2_b64 v[12:15], v102 offset1:55
	ds_read2_b64 v[16:19], v103 offset0:74 offset1:129
	ds_read2_b64 v[30:33], v102 offset0:110 offset1:165
	ds_read2_b64 v[34:37], v25 offset0:92 offset1:147
	v_mov_b32_e32 v43, 3
	v_mul_u32_u24_e32 v41, 0x2c0, v41
	v_lshlrev_b32_sdwa v42, v43, v42 dst_sel:DWORD dst_unused:UNUSED_PAD src0_sel:DWORD src1_sel:BYTE_0
	v_add3_u32 v41, 0, v41, v42
	s_waitcnt lgkmcnt(2)
	v_mov_b32_e32 v40, v19
	s_mov_b32 s0, 0x3f3504f3
	s_waitcnt lgkmcnt(0)
	; wave barrier
	s_waitcnt vmcnt(3) lgkmcnt(0)
	v_mul_f32_e32 v42, v3, v35
	v_mul_f32_e32 v43, v3, v34
	s_waitcnt vmcnt(1)
	v_pk_mul_f32 v[46:47], v[18:19], v[38:39]
	v_mul_f32_e32 v44, v5, v37
	v_mul_f32_e32 v5, v5, v36
	;; [unrolled: 1-line block ×4, first 2 shown]
	v_mov_b32_e32 v46, v39
	s_waitcnt vmcnt(0)
	v_pk_mul_f32 v[48:49], v[8:9], v[14:15] op_sel:[0,1]
	v_pk_mul_f32 v[50:51], v[10:11], v[30:31] op_sel:[0,1]
	;; [unrolled: 1-line block ×3, first 2 shown]
	v_fmac_f32_e32 v42, v2, v34
	v_fma_f32 v43, v2, v35, -v43
	v_fmac_f32_e32 v44, v4, v36
	v_fma_f32 v45, v4, v37, -v5
	;; [unrolled: 2-line block ×3, first 2 shown]
	v_mov_b32_e32 v4, v47
	v_pk_mul_f32 v[6:7], v[18:19], v[46:47]
	v_pk_fma_f32 v[16:17], v[8:9], v[14:15], v[48:49] op_sel:[0,0,1] op_sel_hi:[1,1,0]
	v_pk_fma_f32 v[8:9], v[8:9], v[14:15], v[48:49] op_sel:[0,0,1] op_sel_hi:[1,0,0] neg_lo:[1,0,0] neg_hi:[1,0,0]
	v_pk_fma_f32 v[14:15], v[10:11], v[30:31], v[50:51] op_sel:[0,0,1] op_sel_hi:[1,1,0]
	v_pk_fma_f32 v[10:11], v[10:11], v[30:31], v[50:51] op_sel:[0,0,1] op_sel_hi:[1,0,0] neg_lo:[1,0,0] neg_hi:[1,0,0]
	;; [unrolled: 2-line block ×3, first 2 shown]
	v_pk_fma_f32 v[4:5], v[18:19], v[38:39], v[4:5]
	v_pk_fma_f32 v[6:7], v[40:41], v[38:39], v[6:7] neg_lo:[0,0,1] neg_hi:[0,0,1]
	v_mov_b32_e32 v31, v1
	v_mov_b32_e32 v0, v11
	v_mov_b32_e32 v1, v14
	v_pk_add_f32 v[18:19], v[12:13], v[42:43] neg_lo:[0,1] neg_hi:[0,1]
	v_mov_b32_e32 v17, v9
	v_mov_b32_e32 v15, v11
	;; [unrolled: 1-line block ×3, first 2 shown]
	v_pk_add_f32 v[0:1], v[0:1], v[2:3] neg_lo:[0,1] neg_hi:[0,1]
	v_pk_fma_f32 v[6:7], v[12:13], 2.0, v[18:19] op_sel_hi:[1,0,1] neg_lo:[0,0,1] neg_hi:[0,0,1]
	v_pk_add_f32 v[8:9], v[16:17], v[44:45] neg_lo:[0,1] neg_hi:[0,1]
	v_pk_add_f32 v[2:3], v[30:31], v[4:5] neg_lo:[0,1] neg_hi:[0,1]
	v_pk_fma_f32 v[4:5], v[14:15], 2.0, v[0:1] op_sel:[0,0,1] op_sel_hi:[1,0,0] neg_lo:[0,0,1] neg_hi:[0,0,1]
	v_pk_add_f32 v[12:13], v[18:19], v[0:1]
	v_pk_add_f32 v[0:1], v[18:19], v[0:1] neg_lo:[0,1] neg_hi:[0,1]
	v_pk_fma_f32 v[10:11], v[16:17], 2.0, v[8:9] op_sel_hi:[1,0,1] neg_lo:[0,0,1] neg_hi:[0,0,1]
	v_mov_b32_e32 v0, v8
	v_pk_fma_f32 v[14:15], v[30:31], 2.0, v[2:3] op_sel_hi:[1,0,1] neg_lo:[0,0,1] neg_hi:[0,0,1]
	v_mov_b32_e32 v13, v1
	v_mov_b32_e32 v16, v3
	;; [unrolled: 1-line block ×3, first 2 shown]
	v_pk_add_f32 v[2:3], v[10:11], v[14:15] neg_lo:[0,1] neg_hi:[0,1]
	v_pk_add_f32 v[14:15], v[16:17], v[8:9]
	v_pk_add_f32 v[0:1], v[8:9], v[0:1] neg_lo:[0,1] neg_hi:[0,1]
	v_pk_add_f32 v[4:5], v[6:7], v[4:5] neg_lo:[0,1] neg_hi:[0,1]
	v_mov_b32_e32 v15, v1
	v_pk_fma_f32 v[30:31], v[6:7], 2.0, v[4:5] op_sel_hi:[1,0,1] neg_lo:[0,0,1] neg_hi:[0,0,1]
	v_pk_fma_f32 v[32:33], v[18:19], 2.0, v[12:13] op_sel_hi:[1,0,1] neg_lo:[0,0,1] neg_hi:[0,0,1]
	;; [unrolled: 1-line block ×3, first 2 shown]
	v_pk_add_f32 v[6:7], v[4:5], v[2:3] op_sel:[0,1] op_sel_hi:[1,0]
	v_pk_add_f32 v[2:3], v[4:5], v[2:3] op_sel:[0,1] op_sel_hi:[1,0] neg_lo:[0,1] neg_hi:[0,1]
	v_pk_fma_f32 v[0:1], v[8:9], 2.0, v[14:15] op_sel_hi:[1,0,1] neg_lo:[0,0,1] neg_hi:[0,0,1]
	v_pk_add_f32 v[8:9], v[30:31], v[10:11] neg_lo:[0,1] neg_hi:[0,1]
	v_mov_b32_e32 v7, v3
	v_pk_mul_f32 v[10:11], v[14:15], s[0:1] op_sel_hi:[1,0]
	v_pk_fma_f32 v[14:15], v[14:15], s[0:1], v[12:13] op_sel_hi:[1,0,1]
	v_pk_mul_f32 v[18:19], v[0:1], s[0:1] op_sel_hi:[1,0]
	v_pk_fma_f32 v[34:35], v[0:1], s[0:1], v[32:33] op_sel_hi:[1,0,1] neg_lo:[1,0,0] neg_hi:[1,0,0]
	v_pk_fma_f32 v[36:37], v[4:5], 2.0, v[6:7] op_sel_hi:[1,0,1] neg_lo:[0,0,1] neg_hi:[0,0,1]
	v_pk_add_f32 v[16:17], v[14:15], v[10:11] op_sel:[0,1] op_sel_hi:[1,0]
	v_pk_add_f32 v[4:5], v[14:15], v[10:11] op_sel:[0,1] op_sel_hi:[1,0] neg_lo:[0,1] neg_hi:[0,1]
	v_pk_add_f32 v[0:1], v[34:35], v[18:19] op_sel:[0,1] op_sel_hi:[1,0]
	v_pk_add_f32 v[18:19], v[34:35], v[18:19] op_sel:[0,1] op_sel_hi:[1,0] neg_lo:[0,1] neg_hi:[0,1]
	v_mov_b32_e32 v17, v5
	v_mov_b32_e32 v1, v19
	v_pk_fma_f32 v[30:31], v[30:31], 2.0, v[8:9] op_sel_hi:[1,0,1] neg_lo:[0,0,1] neg_hi:[0,0,1]
	v_pk_fma_f32 v[10:11], v[12:13], 2.0, v[16:17] op_sel_hi:[1,0,1] neg_lo:[0,0,1] neg_hi:[0,0,1]
	;; [unrolled: 1-line block ×3, first 2 shown]
	ds_write2_b64 v41, v[30:31], v[12:13] offset1:11
	ds_write2_b64 v41, v[36:37], v[10:11] offset0:22 offset1:33
	ds_write2_b64 v41, v[8:9], v[0:1] offset0:44 offset1:55
	;; [unrolled: 1-line block ×3, first 2 shown]
	s_waitcnt lgkmcnt(0)
	; wave barrier
	s_waitcnt lgkmcnt(0)
	ds_read2_b64 v[8:11], v102 offset1:88
	ds_read2_b64 v[12:15], v25 offset0:48 offset1:136
	ds_read_b64 v[32:33], v102 offset:2816
	v_cmp_gt_u32_e64 s[0:1], 33, v24
	s_and_saveexec_b64 s[4:5], s[0:1]
	s_cbranch_execz .LBB0_23
; %bb.22:
	v_add_u32_e32 v0, 0x400, v102
	ds_read2_b64 v[4:7], v0 offset0:103 offset1:191
	ds_read2_b64 v[0:3], v102 offset0:55 offset1:143
	ds_read_b64 v[26:27], v102 offset:3256
	s_waitcnt lgkmcnt(2)
	v_mov_b32_e32 v29, v7
	v_mov_b32_e32 v28, v6
	;; [unrolled: 1-line block ×3, first 2 shown]
	s_waitcnt lgkmcnt(1)
	v_mov_b32_e32 v6, v2
	v_mov_b32_e32 v19, v1
.LBB0_23:
	s_or_b64 exec, exec, s[4:5]
	v_lshlrev_b32_e32 v30, 2, v24
	v_mov_b32_e32 v31, 0
	v_lshl_add_u64 v[42:43], v[30:31], 3, s[8:9]
	global_load_dwordx4 v[34:37], v[42:43], off offset:616
	global_load_dwordx4 v[38:41], v[42:43], off offset:632
	s_mov_b32 s10, 0x3f737871
	s_mov_b32 s12, 0x3f167918
	;; [unrolled: 1-line block ×3, first 2 shown]
	v_add_u32_e32 v2, 0x400, v102
	s_waitcnt lgkmcnt(0)
	; wave barrier
	s_waitcnt vmcnt(1) lgkmcnt(0)
	v_pk_mul_f32 v[42:43], v[34:35], v[10:11] op_sel:[0,1]
	v_pk_mul_f32 v[44:45], v[36:37], v[12:13] op_sel:[0,1]
	s_waitcnt vmcnt(0)
	v_pk_mul_f32 v[46:47], v[38:39], v[14:15] op_sel:[0,1]
	v_pk_mul_f32 v[48:49], v[40:41], v[32:33] op_sel:[0,1]
	v_pk_fma_f32 v[50:51], v[34:35], v[10:11], v[42:43] op_sel:[0,0,1] op_sel_hi:[1,1,0]
	v_pk_fma_f32 v[10:11], v[34:35], v[10:11], v[42:43] op_sel:[0,0,1] op_sel_hi:[1,0,0] neg_lo:[1,0,0] neg_hi:[1,0,0]
	v_pk_fma_f32 v[34:35], v[36:37], v[12:13], v[44:45] op_sel:[0,0,1] op_sel_hi:[1,1,0]
	v_pk_fma_f32 v[12:13], v[36:37], v[12:13], v[44:45] op_sel:[0,0,1] op_sel_hi:[1,0,0] neg_lo:[1,0,0] neg_hi:[1,0,0]
	v_pk_fma_f32 v[36:37], v[38:39], v[14:15], v[46:47] op_sel:[0,0,1] op_sel_hi:[1,1,0]
	v_pk_fma_f32 v[14:15], v[38:39], v[14:15], v[46:47] op_sel:[0,0,1] op_sel_hi:[1,0,0] neg_lo:[1,0,0] neg_hi:[1,0,0]
	v_pk_fma_f32 v[38:39], v[40:41], v[32:33], v[48:49] op_sel:[0,0,1] op_sel_hi:[1,1,0]
	v_pk_fma_f32 v[32:33], v[40:41], v[32:33], v[48:49] op_sel:[0,0,1] op_sel_hi:[1,0,0] neg_lo:[1,0,0] neg_hi:[1,0,0]
	v_mov_b32_e32 v51, v11
	v_mov_b32_e32 v35, v13
	;; [unrolled: 1-line block ×4, first 2 shown]
	v_pk_add_f32 v[10:11], v[8:9], v[50:51]
	v_pk_add_f32 v[12:13], v[34:35], v[36:37]
	v_pk_add_f32 v[14:15], v[50:51], v[38:39] neg_lo:[0,1] neg_hi:[0,1]
	v_pk_add_f32 v[32:33], v[34:35], v[36:37] neg_lo:[0,1] neg_hi:[0,1]
	;; [unrolled: 1-line block ×3, first 2 shown]
	v_pk_add_f32 v[44:45], v[50:51], v[38:39]
	v_pk_add_f32 v[46:47], v[34:35], v[50:51] neg_lo:[0,1] neg_hi:[0,1]
	v_pk_add_f32 v[10:11], v[10:11], v[34:35]
	v_pk_fma_f32 v[12:13], v[12:13], 0.5, v[8:9] op_sel_hi:[1,0,1] neg_lo:[1,0,0] neg_hi:[1,0,0]
	v_pk_mul_f32 v[34:35], v[14:15], s[10:11] op_sel_hi:[1,0]
	v_pk_add_f32 v[42:43], v[38:39], v[36:37] neg_lo:[0,1] neg_hi:[0,1]
	v_pk_add_f32 v[48:49], v[36:37], v[38:39] neg_lo:[0,1] neg_hi:[0,1]
	v_pk_mul_f32 v[50:51], v[32:33], s[12:13] op_sel_hi:[1,0]
	v_pk_fma_f32 v[8:9], v[44:45], 0.5, v[8:9] op_sel_hi:[1,0,1] neg_lo:[1,0,0] neg_hi:[1,0,0]
	v_pk_mul_f32 v[32:33], v[32:33], s[10:11] op_sel_hi:[1,0]
	v_pk_add_f32 v[10:11], v[10:11], v[36:37]
	v_pk_add_f32 v[36:37], v[12:13], v[34:35] op_sel:[0,1] op_sel_hi:[1,0] neg_lo:[0,1] neg_hi:[0,1]
	v_pk_add_f32 v[12:13], v[12:13], v[34:35] op_sel:[0,1] op_sel_hi:[1,0]
	v_pk_mul_f32 v[14:15], v[14:15], s[12:13] op_sel_hi:[1,0]
	v_pk_add_f32 v[34:35], v[8:9], v[32:33] op_sel:[0,1] op_sel_hi:[1,0]
	v_pk_add_f32 v[8:9], v[8:9], v[32:33] op_sel:[0,1] op_sel_hi:[1,0] neg_lo:[0,1] neg_hi:[0,1]
	v_pk_add_f32 v[12:13], v[12:13], v[50:51] op_sel:[0,1] op_sel_hi:[1,0]
	v_pk_add_f32 v[32:33], v[36:37], v[50:51] op_sel:[0,1] op_sel_hi:[1,0] neg_lo:[0,1] neg_hi:[0,1]
	v_pk_add_f32 v[40:41], v[40:41], v[42:43]
	v_pk_add_f32 v[8:9], v[8:9], v[14:15] op_sel:[0,1] op_sel_hi:[1,0]
	v_pk_add_f32 v[14:15], v[34:35], v[14:15] op_sel:[0,1] op_sel_hi:[1,0] neg_lo:[0,1] neg_hi:[0,1]
	v_mov_b32_e32 v34, v32
	v_mov_b32_e32 v35, v13
	v_pk_add_f32 v[42:43], v[46:47], v[48:49]
	v_pk_add_f32 v[10:11], v[10:11], v[38:39]
	v_mov_b32_e32 v36, v14
	v_mov_b32_e32 v37, v9
	;; [unrolled: 1-line block ×4, first 2 shown]
	v_pk_fma_f32 v[14:15], v[40:41], s[4:5], v[34:35] op_sel_hi:[1,0,1]
	v_pk_fma_f32 v[32:33], v[42:43], s[4:5], v[36:37] op_sel_hi:[1,0,1]
	;; [unrolled: 1-line block ×4, first 2 shown]
	ds_write2_b64 v102, v[10:11], v[14:15] offset1:88
	ds_write2_b64 v2, v[32:33], v[8:9] offset0:48 offset1:136
	ds_write_b64 v102, v[12:13] offset:2816
	s_and_saveexec_b64 s[14:15], s[0:1]
	s_cbranch_execz .LBB0_25
; %bb.24:
	v_not_b32_e32 v1, 32
	v_cndmask_b32_e64 v1, v1, 55, s[0:1]
	v_add_lshl_u32 v30, v24, v1, 2
	v_lshl_add_u64 v[30:31], v[30:31], 3, s[8:9]
	global_load_dwordx4 v[8:11], v[30:31], off offset:616
	global_load_dwordx4 v[12:15], v[30:31], off offset:632
	v_mov_b32_e32 v4, v3
	v_mov_b32_e32 v18, v5
	;; [unrolled: 1-line block ×4, first 2 shown]
	s_waitcnt vmcnt(1)
	v_pk_mul_f32 v[4:5], v[4:5], v[8:9] op_sel_hi:[0,1]
	v_pk_mul_f32 v[18:19], v[18:19], v[10:11] op_sel_hi:[0,1]
	s_waitcnt vmcnt(0)
	v_pk_mul_f32 v[32:33], v[26:27], v[14:15] op_sel:[1,0]
	v_pk_mul_f32 v[30:31], v[30:31], v[12:13] op_sel_hi:[0,1]
	v_pk_fma_f32 v[34:35], v[16:17], v[10:11], v[18:19] op_sel:[0,0,1] op_sel_hi:[1,1,0]
	v_pk_fma_f32 v[10:11], v[16:17], v[10:11], v[18:19] op_sel:[0,0,1] op_sel_hi:[0,1,0] neg_lo:[1,0,0] neg_hi:[1,0,0]
	v_pk_fma_f32 v[16:17], v[6:7], v[8:9], v[4:5] op_sel:[0,0,1] op_sel_hi:[1,1,0]
	v_pk_fma_f32 v[4:5], v[6:7], v[8:9], v[4:5] op_sel:[0,0,1] op_sel_hi:[0,1,0] neg_lo:[1,0,0] neg_hi:[1,0,0]
	;; [unrolled: 2-line block ×4, first 2 shown]
	v_mov_b32_e32 v35, v11
	v_mov_b32_e32 v17, v5
	v_mov_b32_e32 v7, v9
	v_mov_b32_e32 v13, v15
	v_pk_add_f32 v[4:5], v[0:1], v[16:17]
	v_pk_add_f32 v[8:9], v[16:17], v[34:35] neg_lo:[0,1] neg_hi:[0,1]
	v_pk_add_f32 v[10:11], v[12:13], v[6:7] neg_lo:[0,1] neg_hi:[0,1]
	v_pk_add_f32 v[14:15], v[34:35], v[6:7]
	v_pk_add_f32 v[18:19], v[16:17], v[12:13] neg_lo:[0,1] neg_hi:[0,1]
	v_pk_add_f32 v[26:27], v[34:35], v[6:7] neg_lo:[0,1] neg_hi:[0,1]
	;; [unrolled: 1-line block ×3, first 2 shown]
	v_pk_add_f32 v[16:17], v[16:17], v[12:13]
	v_pk_add_f32 v[4:5], v[4:5], v[34:35]
	;; [unrolled: 1-line block ×3, first 2 shown]
	v_pk_fma_f32 v[10:11], v[14:15], 0.5, v[0:1] op_sel_hi:[1,0,1] neg_lo:[1,0,0] neg_hi:[1,0,0]
	v_pk_mul_f32 v[14:15], v[18:19], s[10:11] op_sel_hi:[1,0]
	v_pk_add_f32 v[30:31], v[6:7], v[12:13] neg_lo:[0,1] neg_hi:[0,1]
	v_pk_mul_f32 v[32:33], v[26:27], s[12:13] op_sel_hi:[1,0]
	v_pk_fma_f32 v[0:1], v[16:17], 0.5, v[0:1] op_sel_hi:[1,0,1] neg_lo:[1,0,0] neg_hi:[1,0,0]
	v_pk_mul_f32 v[16:17], v[26:27], s[10:11] op_sel_hi:[1,0]
	v_pk_add_f32 v[4:5], v[4:5], v[6:7]
	v_pk_add_f32 v[6:7], v[10:11], v[14:15] op_sel:[0,1] op_sel_hi:[1,0] neg_lo:[0,1] neg_hi:[0,1]
	v_pk_add_f32 v[10:11], v[10:11], v[14:15] op_sel:[0,1] op_sel_hi:[1,0]
	v_pk_mul_f32 v[18:19], v[18:19], s[12:13] op_sel_hi:[1,0]
	v_pk_add_f32 v[14:15], v[0:1], v[16:17] op_sel:[0,1] op_sel_hi:[1,0]
	v_pk_add_f32 v[0:1], v[0:1], v[16:17] op_sel:[0,1] op_sel_hi:[1,0] neg_lo:[0,1] neg_hi:[0,1]
	v_pk_add_f32 v[10:11], v[10:11], v[32:33] op_sel:[0,1] op_sel_hi:[1,0]
	v_pk_add_f32 v[6:7], v[6:7], v[32:33] op_sel:[0,1] op_sel_hi:[1,0] neg_lo:[0,1] neg_hi:[0,1]
	v_pk_add_f32 v[4:5], v[4:5], v[12:13]
	v_pk_add_f32 v[0:1], v[0:1], v[18:19] op_sel:[0,1] op_sel_hi:[1,0]
	v_pk_add_f32 v[12:13], v[14:15], v[18:19] op_sel:[0,1] op_sel_hi:[1,0] neg_lo:[0,1] neg_hi:[0,1]
	v_mov_b32_e32 v14, v6
	v_mov_b32_e32 v15, v11
	v_pk_add_f32 v[28:29], v[28:29], v[30:31]
	v_mov_b32_e32 v16, v12
	v_mov_b32_e32 v17, v1
	;; [unrolled: 1-line block ×4, first 2 shown]
	v_pk_fma_f32 v[6:7], v[8:9], s[4:5], v[14:15] op_sel_hi:[1,0,1]
	v_pk_fma_f32 v[12:13], v[28:29], s[4:5], v[16:17] op_sel_hi:[1,0,1]
	;; [unrolled: 1-line block ×4, first 2 shown]
	ds_write2_b64 v102, v[4:5], v[6:7] offset0:55 offset1:143
	ds_write2_b64 v2, v[12:13], v[0:1] offset0:103 offset1:191
	ds_write_b64 v102, v[8:9] offset:3256
.LBB0_25:
	s_or_b64 exec, exec, s[14:15]
	s_waitcnt lgkmcnt(0)
	; wave barrier
	s_waitcnt lgkmcnt(0)
	s_and_saveexec_b64 s[0:1], vcc
	s_cbranch_execz .LBB0_27
; %bb.26:
	v_mul_lo_u32 v0, s3, v22
	v_mul_lo_u32 v1, s2, v23
	v_mad_u64_u32 v[4:5], s[0:1], s2, v22, 0
	v_lshl_add_u32 v10, v24, 3, 0
	v_add3_u32 v5, v5, v1, v0
	ds_read2_b64 v[0:3], v10 offset1:55
	v_lshl_add_u64 v[4:5], v[4:5], 3, s[6:7]
	v_mov_b32_e32 v25, 0
	v_lshl_add_u64 v[8:9], v[20:21], 3, v[4:5]
	v_lshl_add_u64 v[4:5], v[24:25], 3, v[8:9]
	s_waitcnt lgkmcnt(0)
	global_store_dwordx2 v[4:5], v[0:1], off
	ds_read2_b64 v[4:7], v10 offset0:110 offset1:165
	v_add_u32_e32 v0, 55, v24
	v_mov_b32_e32 v1, v25
	v_lshl_add_u64 v[0:1], v[0:1], 3, v[8:9]
	global_store_dwordx2 v[0:1], v[2:3], off
	v_add_u32_e32 v0, 0x6e, v24
	v_mov_b32_e32 v1, v25
	v_lshl_add_u64 v[0:1], v[0:1], 3, v[8:9]
	s_waitcnt lgkmcnt(0)
	global_store_dwordx2 v[0:1], v[4:5], off
	v_add_u32_e32 v0, 0xa5, v24
	v_mov_b32_e32 v1, v25
	v_lshl_add_u64 v[4:5], v[0:1], 3, v[8:9]
	v_add_u32_e32 v0, 0x400, v10
	ds_read2_b64 v[0:3], v0 offset0:92 offset1:147
	global_store_dwordx2 v[4:5], v[6:7], off
	v_add_u32_e32 v4, 0xdc, v24
	v_mov_b32_e32 v5, v25
	v_lshl_add_u64 v[4:5], v[4:5], 3, v[8:9]
	s_waitcnt lgkmcnt(0)
	global_store_dwordx2 v[4:5], v[0:1], off
	v_add_u32_e32 v4, 0x800, v10
	ds_read2_b64 v[4:7], v4 offset0:74 offset1:129
	v_add_u32_e32 v0, 0x113, v24
	v_mov_b32_e32 v1, v25
	v_lshl_add_u64 v[0:1], v[0:1], 3, v[8:9]
	global_store_dwordx2 v[0:1], v[2:3], off
	v_add_u32_e32 v0, 0x14a, v24
	v_mov_b32_e32 v1, v25
	v_lshl_add_u64 v[0:1], v[0:1], 3, v[8:9]
	v_add_u32_e32 v24, 0x181, v24
	s_waitcnt lgkmcnt(0)
	global_store_dwordx2 v[0:1], v[4:5], off
	v_lshl_add_u64 v[0:1], v[24:25], 3, v[8:9]
	global_store_dwordx2 v[0:1], v[6:7], off
.LBB0_27:
	s_endpgm
	.section	.rodata,"a",@progbits
	.p2align	6, 0x0
	.amdhsa_kernel fft_rtc_back_len440_factors_11_8_5_wgs_55_tpt_55_sp_op_CI_CI_unitstride_sbrr_C2R_dirReg
		.amdhsa_group_segment_fixed_size 0
		.amdhsa_private_segment_fixed_size 0
		.amdhsa_kernarg_size 104
		.amdhsa_user_sgpr_count 2
		.amdhsa_user_sgpr_dispatch_ptr 0
		.amdhsa_user_sgpr_queue_ptr 0
		.amdhsa_user_sgpr_kernarg_segment_ptr 1
		.amdhsa_user_sgpr_dispatch_id 0
		.amdhsa_user_sgpr_kernarg_preload_length 0
		.amdhsa_user_sgpr_kernarg_preload_offset 0
		.amdhsa_user_sgpr_private_segment_size 0
		.amdhsa_uses_dynamic_stack 0
		.amdhsa_enable_private_segment 0
		.amdhsa_system_sgpr_workgroup_id_x 1
		.amdhsa_system_sgpr_workgroup_id_y 0
		.amdhsa_system_sgpr_workgroup_id_z 0
		.amdhsa_system_sgpr_workgroup_info 0
		.amdhsa_system_vgpr_workitem_id 0
		.amdhsa_next_free_vgpr 125
		.amdhsa_next_free_sgpr 28
		.amdhsa_accum_offset 128
		.amdhsa_reserve_vcc 1
		.amdhsa_float_round_mode_32 0
		.amdhsa_float_round_mode_16_64 0
		.amdhsa_float_denorm_mode_32 3
		.amdhsa_float_denorm_mode_16_64 3
		.amdhsa_dx10_clamp 1
		.amdhsa_ieee_mode 1
		.amdhsa_fp16_overflow 0
		.amdhsa_tg_split 0
		.amdhsa_exception_fp_ieee_invalid_op 0
		.amdhsa_exception_fp_denorm_src 0
		.amdhsa_exception_fp_ieee_div_zero 0
		.amdhsa_exception_fp_ieee_overflow 0
		.amdhsa_exception_fp_ieee_underflow 0
		.amdhsa_exception_fp_ieee_inexact 0
		.amdhsa_exception_int_div_zero 0
	.end_amdhsa_kernel
	.text
.Lfunc_end0:
	.size	fft_rtc_back_len440_factors_11_8_5_wgs_55_tpt_55_sp_op_CI_CI_unitstride_sbrr_C2R_dirReg, .Lfunc_end0-fft_rtc_back_len440_factors_11_8_5_wgs_55_tpt_55_sp_op_CI_CI_unitstride_sbrr_C2R_dirReg
                                        ; -- End function
	.section	.AMDGPU.csdata,"",@progbits
; Kernel info:
; codeLenInByte = 6472
; NumSgprs: 34
; NumVgprs: 125
; NumAgprs: 0
; TotalNumVgprs: 125
; ScratchSize: 0
; MemoryBound: 0
; FloatMode: 240
; IeeeMode: 1
; LDSByteSize: 0 bytes/workgroup (compile time only)
; SGPRBlocks: 4
; VGPRBlocks: 15
; NumSGPRsForWavesPerEU: 34
; NumVGPRsForWavesPerEU: 125
; AccumOffset: 128
; Occupancy: 4
; WaveLimiterHint : 1
; COMPUTE_PGM_RSRC2:SCRATCH_EN: 0
; COMPUTE_PGM_RSRC2:USER_SGPR: 2
; COMPUTE_PGM_RSRC2:TRAP_HANDLER: 0
; COMPUTE_PGM_RSRC2:TGID_X_EN: 1
; COMPUTE_PGM_RSRC2:TGID_Y_EN: 0
; COMPUTE_PGM_RSRC2:TGID_Z_EN: 0
; COMPUTE_PGM_RSRC2:TIDIG_COMP_CNT: 0
; COMPUTE_PGM_RSRC3_GFX90A:ACCUM_OFFSET: 31
; COMPUTE_PGM_RSRC3_GFX90A:TG_SPLIT: 0
	.text
	.p2alignl 6, 3212836864
	.fill 256, 4, 3212836864
	.type	__hip_cuid_c0fbb252070786f4,@object ; @__hip_cuid_c0fbb252070786f4
	.section	.bss,"aw",@nobits
	.globl	__hip_cuid_c0fbb252070786f4
__hip_cuid_c0fbb252070786f4:
	.byte	0                               ; 0x0
	.size	__hip_cuid_c0fbb252070786f4, 1

	.ident	"AMD clang version 19.0.0git (https://github.com/RadeonOpenCompute/llvm-project roc-6.4.0 25133 c7fe45cf4b819c5991fe208aaa96edf142730f1d)"
	.section	".note.GNU-stack","",@progbits
	.addrsig
	.addrsig_sym __hip_cuid_c0fbb252070786f4
	.amdgpu_metadata
---
amdhsa.kernels:
  - .agpr_count:     0
    .args:
      - .actual_access:  read_only
        .address_space:  global
        .offset:         0
        .size:           8
        .value_kind:     global_buffer
      - .offset:         8
        .size:           8
        .value_kind:     by_value
      - .actual_access:  read_only
        .address_space:  global
        .offset:         16
        .size:           8
        .value_kind:     global_buffer
      - .actual_access:  read_only
        .address_space:  global
        .offset:         24
        .size:           8
        .value_kind:     global_buffer
      - .actual_access:  read_only
        .address_space:  global
        .offset:         32
        .size:           8
        .value_kind:     global_buffer
      - .offset:         40
        .size:           8
        .value_kind:     by_value
      - .actual_access:  read_only
        .address_space:  global
        .offset:         48
        .size:           8
        .value_kind:     global_buffer
      - .actual_access:  read_only
        .address_space:  global
        .offset:         56
        .size:           8
        .value_kind:     global_buffer
      - .offset:         64
        .size:           4
        .value_kind:     by_value
      - .actual_access:  read_only
        .address_space:  global
        .offset:         72
        .size:           8
        .value_kind:     global_buffer
      - .actual_access:  read_only
        .address_space:  global
        .offset:         80
        .size:           8
        .value_kind:     global_buffer
      - .actual_access:  read_only
        .address_space:  global
        .offset:         88
        .size:           8
        .value_kind:     global_buffer
      - .actual_access:  write_only
        .address_space:  global
        .offset:         96
        .size:           8
        .value_kind:     global_buffer
    .group_segment_fixed_size: 0
    .kernarg_segment_align: 8
    .kernarg_segment_size: 104
    .language:       OpenCL C
    .language_version:
      - 2
      - 0
    .max_flat_workgroup_size: 55
    .name:           fft_rtc_back_len440_factors_11_8_5_wgs_55_tpt_55_sp_op_CI_CI_unitstride_sbrr_C2R_dirReg
    .private_segment_fixed_size: 0
    .sgpr_count:     34
    .sgpr_spill_count: 0
    .symbol:         fft_rtc_back_len440_factors_11_8_5_wgs_55_tpt_55_sp_op_CI_CI_unitstride_sbrr_C2R_dirReg.kd
    .uniform_work_group_size: 1
    .uses_dynamic_stack: false
    .vgpr_count:     125
    .vgpr_spill_count: 0
    .wavefront_size: 64
amdhsa.target:   amdgcn-amd-amdhsa--gfx950
amdhsa.version:
  - 1
  - 2
...

	.end_amdgpu_metadata
